;; amdgpu-corpus repo=ROCm/rocFFT kind=compiled arch=gfx1201 opt=O3
	.text
	.amdgcn_target "amdgcn-amd-amdhsa--gfx1201"
	.amdhsa_code_object_version 6
	.protected	fft_rtc_back_len1100_factors_2_2_11_5_5_wgs_110_tpt_110_sp_op_CI_CI_unitstride_sbrr_C2R_dirReg ; -- Begin function fft_rtc_back_len1100_factors_2_2_11_5_5_wgs_110_tpt_110_sp_op_CI_CI_unitstride_sbrr_C2R_dirReg
	.globl	fft_rtc_back_len1100_factors_2_2_11_5_5_wgs_110_tpt_110_sp_op_CI_CI_unitstride_sbrr_C2R_dirReg
	.p2align	8
	.type	fft_rtc_back_len1100_factors_2_2_11_5_5_wgs_110_tpt_110_sp_op_CI_CI_unitstride_sbrr_C2R_dirReg,@function
fft_rtc_back_len1100_factors_2_2_11_5_5_wgs_110_tpt_110_sp_op_CI_CI_unitstride_sbrr_C2R_dirReg: ; @fft_rtc_back_len1100_factors_2_2_11_5_5_wgs_110_tpt_110_sp_op_CI_CI_unitstride_sbrr_C2R_dirReg
; %bb.0:
	s_clause 0x2
	s_load_b128 s[8:11], s[0:1], 0x0
	s_load_b128 s[4:7], s[0:1], 0x58
	;; [unrolled: 1-line block ×3, first 2 shown]
	v_mul_u32_u24_e32 v1, 0x254, v0
	v_mov_b32_e32 v3, 0
	s_delay_alu instid0(VALU_DEP_2) | instskip(NEXT) | instid1(VALU_DEP_1)
	v_lshrrev_b32_e32 v1, 16, v1
	v_add_nc_u32_e32 v5, ttmp9, v1
	v_mov_b32_e32 v1, 0
	v_mov_b32_e32 v2, 0
	;; [unrolled: 1-line block ×3, first 2 shown]
	s_wait_kmcnt 0x0
	v_cmp_lt_u64_e64 s2, s[10:11], 2
	s_delay_alu instid0(VALU_DEP_1)
	s_and_b32 vcc_lo, exec_lo, s2
	s_cbranch_vccnz .LBB0_8
; %bb.1:
	s_load_b64 s[2:3], s[0:1], 0x10
	v_mov_b32_e32 v1, 0
	v_mov_b32_e32 v2, 0
	s_add_nc_u64 s[16:17], s[14:15], 8
	s_add_nc_u64 s[18:19], s[12:13], 8
	s_mov_b64 s[20:21], 1
	s_delay_alu instid0(VALU_DEP_1)
	v_dual_mov_b32 v41, v2 :: v_dual_mov_b32 v40, v1
	s_wait_kmcnt 0x0
	s_add_nc_u64 s[22:23], s[2:3], 8
	s_mov_b32 s3, 0
.LBB0_2:                                ; =>This Inner Loop Header: Depth=1
	s_load_b64 s[24:25], s[22:23], 0x0
                                        ; implicit-def: $vgpr44_vgpr45
	s_mov_b32 s2, exec_lo
	s_wait_kmcnt 0x0
	v_or_b32_e32 v4, s25, v6
	s_delay_alu instid0(VALU_DEP_1)
	v_cmpx_ne_u64_e32 0, v[3:4]
	s_wait_alu 0xfffe
	s_xor_b32 s26, exec_lo, s2
	s_cbranch_execz .LBB0_4
; %bb.3:                                ;   in Loop: Header=BB0_2 Depth=1
	s_cvt_f32_u32 s2, s24
	s_cvt_f32_u32 s27, s25
	s_sub_nc_u64 s[30:31], 0, s[24:25]
	s_wait_alu 0xfffe
	s_delay_alu instid0(SALU_CYCLE_1) | instskip(SKIP_1) | instid1(SALU_CYCLE_2)
	s_fmamk_f32 s2, s27, 0x4f800000, s2
	s_wait_alu 0xfffe
	v_s_rcp_f32 s2, s2
	s_delay_alu instid0(TRANS32_DEP_1) | instskip(SKIP_1) | instid1(SALU_CYCLE_2)
	s_mul_f32 s2, s2, 0x5f7ffffc
	s_wait_alu 0xfffe
	s_mul_f32 s27, s2, 0x2f800000
	s_wait_alu 0xfffe
	s_delay_alu instid0(SALU_CYCLE_2) | instskip(SKIP_1) | instid1(SALU_CYCLE_2)
	s_trunc_f32 s27, s27
	s_wait_alu 0xfffe
	s_fmamk_f32 s2, s27, 0xcf800000, s2
	s_cvt_u32_f32 s29, s27
	s_wait_alu 0xfffe
	s_delay_alu instid0(SALU_CYCLE_1) | instskip(SKIP_1) | instid1(SALU_CYCLE_2)
	s_cvt_u32_f32 s28, s2
	s_wait_alu 0xfffe
	s_mul_u64 s[34:35], s[30:31], s[28:29]
	s_wait_alu 0xfffe
	s_mul_hi_u32 s37, s28, s35
	s_mul_i32 s36, s28, s35
	s_mul_hi_u32 s2, s28, s34
	s_mul_i32 s33, s29, s34
	s_wait_alu 0xfffe
	s_add_nc_u64 s[36:37], s[2:3], s[36:37]
	s_mul_hi_u32 s27, s29, s34
	s_mul_hi_u32 s38, s29, s35
	s_add_co_u32 s2, s36, s33
	s_wait_alu 0xfffe
	s_add_co_ci_u32 s2, s37, s27
	s_mul_i32 s34, s29, s35
	s_add_co_ci_u32 s35, s38, 0
	s_wait_alu 0xfffe
	s_add_nc_u64 s[34:35], s[2:3], s[34:35]
	s_wait_alu 0xfffe
	v_add_co_u32 v4, s2, s28, s34
	s_delay_alu instid0(VALU_DEP_1) | instskip(SKIP_1) | instid1(VALU_DEP_1)
	s_cmp_lg_u32 s2, 0
	s_add_co_ci_u32 s29, s29, s35
	v_readfirstlane_b32 s28, v4
	s_wait_alu 0xfffe
	s_delay_alu instid0(VALU_DEP_1)
	s_mul_u64 s[30:31], s[30:31], s[28:29]
	s_wait_alu 0xfffe
	s_mul_hi_u32 s35, s28, s31
	s_mul_i32 s34, s28, s31
	s_mul_hi_u32 s2, s28, s30
	s_mul_i32 s33, s29, s30
	s_wait_alu 0xfffe
	s_add_nc_u64 s[34:35], s[2:3], s[34:35]
	s_mul_hi_u32 s27, s29, s30
	s_mul_hi_u32 s28, s29, s31
	s_wait_alu 0xfffe
	s_add_co_u32 s2, s34, s33
	s_add_co_ci_u32 s2, s35, s27
	s_mul_i32 s30, s29, s31
	s_add_co_ci_u32 s31, s28, 0
	s_wait_alu 0xfffe
	s_add_nc_u64 s[30:31], s[2:3], s[30:31]
	s_wait_alu 0xfffe
	v_add_co_u32 v4, s2, v4, s30
	s_delay_alu instid0(VALU_DEP_1) | instskip(SKIP_1) | instid1(VALU_DEP_1)
	s_cmp_lg_u32 s2, 0
	s_add_co_ci_u32 s2, s29, s31
	v_mul_hi_u32 v13, v5, v4
	s_wait_alu 0xfffe
	v_mad_co_u64_u32 v[7:8], null, v5, s2, 0
	v_mad_co_u64_u32 v[9:10], null, v6, v4, 0
	;; [unrolled: 1-line block ×3, first 2 shown]
	s_delay_alu instid0(VALU_DEP_3) | instskip(SKIP_1) | instid1(VALU_DEP_4)
	v_add_co_u32 v4, vcc_lo, v13, v7
	s_wait_alu 0xfffd
	v_add_co_ci_u32_e32 v7, vcc_lo, 0, v8, vcc_lo
	s_delay_alu instid0(VALU_DEP_2) | instskip(SKIP_1) | instid1(VALU_DEP_2)
	v_add_co_u32 v4, vcc_lo, v4, v9
	s_wait_alu 0xfffd
	v_add_co_ci_u32_e32 v4, vcc_lo, v7, v10, vcc_lo
	s_wait_alu 0xfffd
	v_add_co_ci_u32_e32 v7, vcc_lo, 0, v12, vcc_lo
	s_delay_alu instid0(VALU_DEP_2) | instskip(SKIP_1) | instid1(VALU_DEP_2)
	v_add_co_u32 v4, vcc_lo, v4, v11
	s_wait_alu 0xfffd
	v_add_co_ci_u32_e32 v9, vcc_lo, 0, v7, vcc_lo
	s_delay_alu instid0(VALU_DEP_2) | instskip(SKIP_1) | instid1(VALU_DEP_3)
	v_mul_lo_u32 v10, s25, v4
	v_mad_co_u64_u32 v[7:8], null, s24, v4, 0
	v_mul_lo_u32 v11, s24, v9
	s_delay_alu instid0(VALU_DEP_2) | instskip(NEXT) | instid1(VALU_DEP_2)
	v_sub_co_u32 v7, vcc_lo, v5, v7
	v_add3_u32 v8, v8, v11, v10
	s_delay_alu instid0(VALU_DEP_1) | instskip(SKIP_1) | instid1(VALU_DEP_1)
	v_sub_nc_u32_e32 v10, v6, v8
	s_wait_alu 0xfffd
	v_subrev_co_ci_u32_e64 v10, s2, s25, v10, vcc_lo
	v_add_co_u32 v11, s2, v4, 2
	s_wait_alu 0xf1ff
	v_add_co_ci_u32_e64 v12, s2, 0, v9, s2
	v_sub_co_u32 v13, s2, v7, s24
	v_sub_co_ci_u32_e32 v8, vcc_lo, v6, v8, vcc_lo
	s_wait_alu 0xf1ff
	v_subrev_co_ci_u32_e64 v10, s2, 0, v10, s2
	s_delay_alu instid0(VALU_DEP_3) | instskip(NEXT) | instid1(VALU_DEP_3)
	v_cmp_le_u32_e32 vcc_lo, s24, v13
	v_cmp_eq_u32_e64 s2, s25, v8
	s_wait_alu 0xfffd
	v_cndmask_b32_e64 v13, 0, -1, vcc_lo
	v_cmp_le_u32_e32 vcc_lo, s25, v10
	s_wait_alu 0xfffd
	v_cndmask_b32_e64 v14, 0, -1, vcc_lo
	v_cmp_le_u32_e32 vcc_lo, s24, v7
	;; [unrolled: 3-line block ×3, first 2 shown]
	s_wait_alu 0xfffd
	v_cndmask_b32_e64 v15, 0, -1, vcc_lo
	v_cmp_eq_u32_e32 vcc_lo, s25, v10
	s_wait_alu 0xf1ff
	s_delay_alu instid0(VALU_DEP_2)
	v_cndmask_b32_e64 v7, v15, v7, s2
	s_wait_alu 0xfffd
	v_cndmask_b32_e32 v10, v14, v13, vcc_lo
	v_add_co_u32 v13, vcc_lo, v4, 1
	s_wait_alu 0xfffd
	v_add_co_ci_u32_e32 v14, vcc_lo, 0, v9, vcc_lo
	s_delay_alu instid0(VALU_DEP_3) | instskip(SKIP_1) | instid1(VALU_DEP_2)
	v_cmp_ne_u32_e32 vcc_lo, 0, v10
	s_wait_alu 0xfffd
	v_cndmask_b32_e32 v8, v14, v12, vcc_lo
	v_cndmask_b32_e32 v10, v13, v11, vcc_lo
	v_cmp_ne_u32_e32 vcc_lo, 0, v7
	s_wait_alu 0xfffd
	s_delay_alu instid0(VALU_DEP_2)
	v_dual_cndmask_b32 v45, v9, v8 :: v_dual_cndmask_b32 v44, v4, v10
.LBB0_4:                                ;   in Loop: Header=BB0_2 Depth=1
	s_wait_alu 0xfffe
	s_and_not1_saveexec_b32 s2, s26
	s_cbranch_execz .LBB0_6
; %bb.5:                                ;   in Loop: Header=BB0_2 Depth=1
	v_cvt_f32_u32_e32 v4, s24
	s_sub_co_i32 s26, 0, s24
	v_mov_b32_e32 v45, v3
	s_delay_alu instid0(VALU_DEP_2) | instskip(NEXT) | instid1(TRANS32_DEP_1)
	v_rcp_iflag_f32_e32 v4, v4
	v_mul_f32_e32 v4, 0x4f7ffffe, v4
	s_delay_alu instid0(VALU_DEP_1) | instskip(SKIP_1) | instid1(VALU_DEP_1)
	v_cvt_u32_f32_e32 v4, v4
	s_wait_alu 0xfffe
	v_mul_lo_u32 v7, s26, v4
	s_delay_alu instid0(VALU_DEP_1) | instskip(NEXT) | instid1(VALU_DEP_1)
	v_mul_hi_u32 v7, v4, v7
	v_add_nc_u32_e32 v4, v4, v7
	s_delay_alu instid0(VALU_DEP_1) | instskip(NEXT) | instid1(VALU_DEP_1)
	v_mul_hi_u32 v4, v5, v4
	v_mul_lo_u32 v7, v4, s24
	v_add_nc_u32_e32 v8, 1, v4
	s_delay_alu instid0(VALU_DEP_2) | instskip(NEXT) | instid1(VALU_DEP_1)
	v_sub_nc_u32_e32 v7, v5, v7
	v_subrev_nc_u32_e32 v9, s24, v7
	v_cmp_le_u32_e32 vcc_lo, s24, v7
	s_wait_alu 0xfffd
	s_delay_alu instid0(VALU_DEP_2) | instskip(NEXT) | instid1(VALU_DEP_1)
	v_dual_cndmask_b32 v7, v7, v9 :: v_dual_cndmask_b32 v4, v4, v8
	v_cmp_le_u32_e32 vcc_lo, s24, v7
	s_delay_alu instid0(VALU_DEP_2) | instskip(SKIP_1) | instid1(VALU_DEP_1)
	v_add_nc_u32_e32 v8, 1, v4
	s_wait_alu 0xfffd
	v_cndmask_b32_e32 v44, v4, v8, vcc_lo
.LBB0_6:                                ;   in Loop: Header=BB0_2 Depth=1
	s_wait_alu 0xfffe
	s_or_b32 exec_lo, exec_lo, s2
	v_mul_lo_u32 v4, v45, s24
	s_delay_alu instid0(VALU_DEP_2)
	v_mul_lo_u32 v9, v44, s25
	s_load_b64 s[26:27], s[18:19], 0x0
	v_mad_co_u64_u32 v[7:8], null, v44, s24, 0
	s_load_b64 s[24:25], s[16:17], 0x0
	s_add_nc_u64 s[20:21], s[20:21], 1
	s_add_nc_u64 s[16:17], s[16:17], 8
	s_wait_alu 0xfffe
	v_cmp_ge_u64_e64 s2, s[20:21], s[10:11]
	s_add_nc_u64 s[18:19], s[18:19], 8
	s_add_nc_u64 s[22:23], s[22:23], 8
	v_add3_u32 v4, v8, v9, v4
	v_sub_co_u32 v5, vcc_lo, v5, v7
	s_wait_alu 0xfffd
	s_delay_alu instid0(VALU_DEP_2) | instskip(SKIP_2) | instid1(VALU_DEP_1)
	v_sub_co_ci_u32_e32 v4, vcc_lo, v6, v4, vcc_lo
	s_and_b32 vcc_lo, exec_lo, s2
	s_wait_kmcnt 0x0
	v_mul_lo_u32 v6, s26, v4
	v_mul_lo_u32 v7, s27, v5
	v_mad_co_u64_u32 v[1:2], null, s26, v5, v[1:2]
	v_mul_lo_u32 v4, s24, v4
	v_mul_lo_u32 v8, s25, v5
	v_mad_co_u64_u32 v[40:41], null, s24, v5, v[40:41]
	s_delay_alu instid0(VALU_DEP_4) | instskip(NEXT) | instid1(VALU_DEP_2)
	v_add3_u32 v2, v7, v2, v6
	v_add3_u32 v41, v8, v41, v4
	s_wait_alu 0xfffe
	s_cbranch_vccnz .LBB0_9
; %bb.7:                                ;   in Loop: Header=BB0_2 Depth=1
	v_dual_mov_b32 v5, v44 :: v_dual_mov_b32 v6, v45
	s_branch .LBB0_2
.LBB0_8:
	v_dual_mov_b32 v41, v2 :: v_dual_mov_b32 v40, v1
	v_dual_mov_b32 v45, v6 :: v_dual_mov_b32 v44, v5
.LBB0_9:
	s_load_b64 s[0:1], s[0:1], 0x28
	v_mul_hi_u32 v3, 0x253c826, v0
	s_lshl_b64 s[10:11], s[10:11], 3
                                        ; implicit-def: $vgpr42
	s_wait_alu 0xfffe
	s_add_nc_u64 s[2:3], s[14:15], s[10:11]
	s_wait_kmcnt 0x0
	v_cmp_gt_u64_e32 vcc_lo, s[0:1], v[44:45]
	v_cmp_le_u64_e64 s0, s[0:1], v[44:45]
	s_delay_alu instid0(VALU_DEP_1)
	s_and_saveexec_b32 s1, s0
	s_wait_alu 0xfffe
	s_xor_b32 s0, exec_lo, s1
; %bb.10:
	v_mul_u32_u24_e32 v1, 0x6e, v3
                                        ; implicit-def: $vgpr3
	s_delay_alu instid0(VALU_DEP_1)
	v_sub_nc_u32_e32 v42, v0, v1
                                        ; implicit-def: $vgpr0
                                        ; implicit-def: $vgpr1_vgpr2
; %bb.11:
	s_wait_alu 0xfffe
	s_or_saveexec_b32 s1, s0
	s_load_b64 s[2:3], s[2:3], 0x0
	s_xor_b32 exec_lo, exec_lo, s1
	s_cbranch_execz .LBB0_15
; %bb.12:
	s_add_nc_u64 s[10:11], s[12:13], s[10:11]
	v_lshlrev_b64_e32 v[1:2], 3, v[1:2]
	s_load_b64 s[10:11], s[10:11], 0x0
	s_wait_kmcnt 0x0
	v_mul_lo_u32 v6, s11, v44
	v_mul_lo_u32 v7, s10, v45
	v_mad_co_u64_u32 v[4:5], null, s10, v44, 0
	s_delay_alu instid0(VALU_DEP_1) | instskip(SKIP_1) | instid1(VALU_DEP_2)
	v_add3_u32 v5, v5, v7, v6
	v_mul_u32_u24_e32 v6, 0x6e, v3
	v_lshlrev_b64_e32 v[3:4], 3, v[4:5]
	s_delay_alu instid0(VALU_DEP_2) | instskip(NEXT) | instid1(VALU_DEP_1)
	v_sub_nc_u32_e32 v42, v0, v6
	v_lshlrev_b32_e32 v22, 3, v42
	s_delay_alu instid0(VALU_DEP_3) | instskip(SKIP_1) | instid1(VALU_DEP_4)
	v_add_co_u32 v0, s0, s4, v3
	s_wait_alu 0xf1ff
	v_add_co_ci_u32_e64 v3, s0, s5, v4, s0
	s_mov_b32 s4, exec_lo
	s_delay_alu instid0(VALU_DEP_2) | instskip(SKIP_1) | instid1(VALU_DEP_2)
	v_add_co_u32 v0, s0, v0, v1
	s_wait_alu 0xf1ff
	v_add_co_ci_u32_e64 v1, s0, v3, v2, s0
	s_delay_alu instid0(VALU_DEP_2) | instskip(SKIP_1) | instid1(VALU_DEP_2)
	v_add_co_u32 v2, s0, v0, v22
	s_wait_alu 0xf1ff
	v_add_co_ci_u32_e64 v3, s0, 0, v1, s0
	s_clause 0x9
	global_load_b64 v[4:5], v[2:3], off
	global_load_b64 v[6:7], v[2:3], off offset:880
	global_load_b64 v[8:9], v[2:3], off offset:1760
	;; [unrolled: 1-line block ×9, first 2 shown]
	v_add_nc_u32_e32 v22, 0, v22
	s_delay_alu instid0(VALU_DEP_1)
	v_add_nc_u32_e32 v23, 0x400, v22
	v_add_nc_u32_e32 v24, 0xc00, v22
	;; [unrolled: 1-line block ×4, first 2 shown]
	s_wait_loadcnt 0x8
	ds_store_2addr_b64 v22, v[4:5], v[6:7] offset1:110
	s_wait_loadcnt 0x6
	ds_store_2addr_b64 v23, v[8:9], v[10:11] offset0:92 offset1:202
	s_wait_loadcnt 0x4
	ds_store_2addr_b64 v24, v[12:13], v[14:15] offset0:56 offset1:166
	;; [unrolled: 2-line block ×4, first 2 shown]
	v_cmpx_eq_u32_e32 0x6d, v42
	s_cbranch_execz .LBB0_14
; %bb.13:
	global_load_b64 v[0:1], v[0:1], off offset:8800
	v_mov_b32_e32 v2, 0
	v_mov_b32_e32 v42, 0x6d
	s_wait_loadcnt 0x0
	ds_store_b64 v2, v[0:1] offset:8800
.LBB0_14:
	s_wait_alu 0xfffe
	s_or_b32 exec_lo, exec_lo, s4
.LBB0_15:
	s_delay_alu instid0(SALU_CYCLE_1)
	s_or_b32 exec_lo, exec_lo, s1
	v_lshlrev_b32_e32 v0, 3, v42
	global_wb scope:SCOPE_SE
	s_wait_dscnt 0x0
	s_wait_kmcnt 0x0
	s_barrier_signal -1
	s_barrier_wait -1
	global_inv scope:SCOPE_SE
	v_add_nc_u32_e32 v48, 0, v0
	v_sub_nc_u32_e32 v4, 0, v0
	s_mov_b32 s1, exec_lo
	ds_load_b32 v1, v48
	ds_load_b32 v2, v4 offset:8800
	s_wait_dscnt 0x0
	v_dual_add_f32 v0, v2, v1 :: v_dual_sub_f32 v1, v1, v2
                                        ; implicit-def: $vgpr2_vgpr3
	v_cmpx_ne_u32_e32 0, v42
	s_wait_alu 0xfffe
	s_xor_b32 s1, exec_lo, s1
	s_cbranch_execz .LBB0_17
; %bb.16:
	v_mov_b32_e32 v43, 0
	s_delay_alu instid0(VALU_DEP_1) | instskip(NEXT) | instid1(VALU_DEP_1)
	v_lshlrev_b64_e32 v[2:3], 3, v[42:43]
	v_add_co_u32 v2, s0, s8, v2
	s_wait_alu 0xf1ff
	s_delay_alu instid0(VALU_DEP_2)
	v_add_co_ci_u32_e64 v3, s0, s9, v3, s0
	global_load_b64 v[2:3], v[2:3], off offset:8784
	ds_load_b32 v5, v4 offset:8804
	ds_load_b32 v6, v48 offset:4
	s_wait_dscnt 0x0
	v_add_f32_e32 v9, v5, v6
	v_sub_f32_e32 v5, v6, v5
	s_wait_loadcnt 0x0
	s_delay_alu instid0(VALU_DEP_1) | instskip(SKIP_2) | instid1(VALU_DEP_3)
	v_fma_f32 v8, v9, v3, -v5
	v_fma_f32 v10, v1, v3, v0
	v_fma_f32 v7, -v1, v3, v0
                                        ; implicit-def: $vgpr0
	v_fmac_f32_e32 v8, v1, v2
	v_fma_f32 v6, v9, v3, v5
	s_delay_alu instid0(VALU_DEP_4) | instskip(NEXT) | instid1(VALU_DEP_2)
	v_fma_f32 v5, -v2, v9, v10
	v_dual_fmac_f32 v7, v2, v9 :: v_dual_fmac_f32 v6, v1, v2
	v_dual_mov_b32 v2, v42 :: v_dual_mov_b32 v3, v43
	ds_store_b64 v48, v[5:6]
	ds_store_b64 v4, v[7:8] offset:8800
.LBB0_17:
	s_wait_alu 0xfffe
	s_and_not1_saveexec_b32 s0, s1
	s_cbranch_execz .LBB0_19
; %bb.18:
	v_mov_b32_e32 v5, 0
	ds_store_b64 v48, v[0:1]
	v_mov_b32_e32 v2, 0
	v_mov_b32_e32 v3, 0
	ds_load_b64 v[0:1], v5 offset:4400
	s_wait_dscnt 0x0
	v_dual_add_f32 v0, v0, v0 :: v_dual_mul_f32 v1, -2.0, v1
	ds_store_b64 v5, v[0:1] offset:4400
.LBB0_19:
	s_wait_alu 0xfffe
	s_or_b32 exec_lo, exec_lo, s0
	v_lshlrev_b64_e32 v[0:1], 3, v[2:3]
	s_add_nc_u64 s[0:1], s[8:9], 0x2250
	v_add_nc_u32_e32 v25, 0x14a, v42
	v_lshl_add_u32 v27, v42, 3, v48
                                        ; implicit-def: $vgpr47
	v_add_nc_u32_e32 v22, 0xc00, v48
	v_add_nc_u32_e32 v20, 0x400, v48
	s_wait_alu 0xfffe
	v_add_co_u32 v0, s0, s0, v0
	s_wait_alu 0xf1ff
	v_add_co_ci_u32_e64 v1, s0, s1, v1, s0
	s_clause 0x3
	global_load_b64 v[2:3], v[0:1], off offset:880
	global_load_b64 v[5:6], v[0:1], off offset:1760
	;; [unrolled: 1-line block ×4, first 2 shown]
	ds_load_b64 v[9:10], v48 offset:880
	ds_load_b64 v[11:12], v4 offset:7920
	v_lshl_add_u32 v31, v25, 4, 0
	v_cmp_gt_u32_e64 s0, 0x64, v42
	v_add_nc_u32_e32 v24, 0xdc, v42
	s_delay_alu instid0(VALU_DEP_1)
	v_lshl_add_u32 v30, v24, 4, 0
	s_wait_dscnt 0x0
	v_dual_add_f32 v13, v9, v11 :: v_dual_add_f32 v14, v12, v10
	v_sub_f32_e32 v15, v9, v11
	v_sub_f32_e32 v9, v10, v12
	s_wait_loadcnt 0x3
	s_delay_alu instid0(VALU_DEP_1) | instskip(NEXT) | instid1(VALU_DEP_3)
	v_fma_f32 v10, v14, v3, v9
	v_fma_f32 v16, v15, v3, v13
	v_fma_f32 v11, -v15, v3, v13
	s_delay_alu instid0(VALU_DEP_3) | instskip(SKIP_1) | instid1(VALU_DEP_4)
	v_fmac_f32_e32 v10, v15, v2
	v_fma_f32 v12, v14, v3, -v9
	v_fma_f32 v9, -v2, v14, v16
	s_delay_alu instid0(VALU_DEP_4) | instskip(NEXT) | instid1(VALU_DEP_3)
	v_fmac_f32_e32 v11, v2, v14
	v_fmac_f32_e32 v12, v15, v2
	ds_store_b64 v48, v[9:10] offset:880
	ds_store_b64 v4, v[11:12] offset:7920
	ds_load_b64 v[2:3], v48 offset:1760
	ds_load_b64 v[9:10], v4 offset:7040
	s_wait_dscnt 0x0
	v_add_f32_e32 v11, v2, v9
	v_sub_f32_e32 v13, v2, v9
	v_add_f32_e32 v12, v10, v3
	v_sub_f32_e32 v2, v3, v10
	s_wait_loadcnt 0x2
	s_delay_alu instid0(VALU_DEP_3) | instskip(SKIP_1) | instid1(VALU_DEP_3)
	v_fma_f32 v14, v13, v6, v11
	v_fma_f32 v9, -v13, v6, v11
	v_fma_f32 v3, v12, v6, v2
	s_delay_alu instid0(VALU_DEP_1) | instskip(SKIP_3) | instid1(VALU_DEP_3)
	v_fmac_f32_e32 v3, v13, v5
	v_fma_f32 v10, v12, v6, -v2
	v_fma_f32 v2, -v5, v12, v14
	v_fmac_f32_e32 v9, v5, v12
	v_fmac_f32_e32 v10, v13, v5
	ds_store_b64 v48, v[2:3] offset:1760
	ds_store_b64 v4, v[9:10] offset:7040
	ds_load_b64 v[2:3], v48 offset:2640
	ds_load_b64 v[5:6], v4 offset:6160
	s_wait_dscnt 0x0
	v_add_f32_e32 v10, v6, v3
	v_sub_f32_e32 v11, v2, v5
	v_dual_add_f32 v9, v2, v5 :: v_dual_sub_f32 v2, v3, v6
	s_wait_loadcnt 0x1
	s_delay_alu instid0(VALU_DEP_1) | instskip(SKIP_1) | instid1(VALU_DEP_2)
	v_fma_f32 v6, v10, v8, -v2
	v_fma_f32 v3, v10, v8, v2
	v_fmac_f32_e32 v6, v11, v7
	v_fma_f32 v12, v11, v8, v9
	v_fma_f32 v5, -v11, v8, v9
	s_delay_alu instid0(VALU_DEP_4) | instskip(NEXT) | instid1(VALU_DEP_3)
	v_fmac_f32_e32 v3, v11, v7
	v_fma_f32 v2, -v7, v10, v12
	s_delay_alu instid0(VALU_DEP_3)
	v_fmac_f32_e32 v5, v7, v10
	ds_store_b64 v48, v[2:3] offset:2640
	ds_store_b64 v4, v[5:6] offset:6160
	ds_load_b64 v[2:3], v48 offset:3520
	ds_load_b64 v[5:6], v4 offset:5280
	s_wait_dscnt 0x0
	v_add_f32_e32 v8, v6, v3
	v_add_f32_e32 v7, v2, v5
	v_sub_f32_e32 v9, v2, v5
	v_sub_f32_e32 v3, v3, v6
	s_wait_loadcnt 0x0
	s_delay_alu instid0(VALU_DEP_2) | instskip(NEXT) | instid1(VALU_DEP_2)
	v_fma_f32 v10, v9, v1, v7
	v_fma_f32 v2, v8, v1, v3
	v_fma_f32 v5, -v9, v1, v7
	v_fma_f32 v6, v8, v1, -v3
	s_delay_alu instid0(VALU_DEP_4) | instskip(NEXT) | instid1(VALU_DEP_4)
	v_fma_f32 v1, -v0, v8, v10
	v_fmac_f32_e32 v2, v9, v0
	s_delay_alu instid0(VALU_DEP_4) | instskip(NEXT) | instid1(VALU_DEP_4)
	v_fmac_f32_e32 v5, v0, v8
	v_fmac_f32_e32 v6, v9, v0
	ds_store_b64 v48, v[1:2] offset:3520
	ds_store_b64 v4, v[5:6] offset:5280
	global_wb scope:SCOPE_SE
	s_wait_dscnt 0x0
	s_barrier_signal -1
	s_barrier_wait -1
	global_inv scope:SCOPE_SE
	global_wb scope:SCOPE_SE
	s_barrier_signal -1
	s_barrier_wait -1
	global_inv scope:SCOPE_SE
	ds_load_2addr_b64 v[0:3], v48 offset1:110
	ds_load_2addr_b64 v[4:7], v22 offset0:56 offset1:166
	v_add_nc_u32_e32 v23, 0x1400, v48
	ds_load_2addr_b64 v[12:15], v20 offset0:92 offset1:202
	s_wait_dscnt 0x1
	v_dual_sub_f32 v7, v1, v7 :: v_dual_add_nc_u32 v26, 0x1b8, v42
	v_sub_f32_e32 v6, v0, v6
	ds_load_2addr_b64 v[8:11], v23 offset0:20 offset1:130
	v_add_nc_u32_e32 v21, 0x1800, v48
	v_and_b32_e32 v28, 1, v42
	v_fma_f32 v1, v1, 2.0, -v7
	v_fma_f32 v0, v0, 2.0, -v6
	v_lshl_add_u32 v32, v26, 4, 0
	s_wait_dscnt 0x0
	v_dual_sub_f32 v9, v3, v9 :: v_dual_sub_f32 v10, v12, v10
	ds_load_2addr_b64 v[16:19], v21 offset0:112 offset1:222
	v_dual_sub_f32 v8, v2, v8 :: v_dual_add_nc_u32 v43, 0x6e, v42
	v_sub_f32_e32 v11, v13, v11
	v_lshlrev_b32_e32 v33, 3, v28
	v_fma_f32 v3, v3, 2.0, -v9
	v_fma_f32 v12, v12, 2.0, -v10
	;; [unrolled: 1-line block ×4, first 2 shown]
	global_wb scope:SCOPE_SE
	s_wait_dscnt 0x0
	s_barrier_signal -1
	s_barrier_wait -1
	global_inv scope:SCOPE_SE
	v_sub_f32_e32 v18, v4, v18
	v_dual_sub_f32 v16, v14, v16 :: v_dual_sub_f32 v17, v15, v17
	v_sub_f32_e32 v19, v5, v19
	v_lshl_add_u32 v29, v43, 4, 0
	s_delay_alu instid0(VALU_DEP_4) | instskip(NEXT) | instid1(VALU_DEP_4)
	v_fma_f32 v4, v4, 2.0, -v18
	v_fma_f32 v14, v14, 2.0, -v16
	;; [unrolled: 1-line block ×4, first 2 shown]
	ds_store_2addr_b64 v27, v[0:1], v[6:7] offset1:1
	ds_store_2addr_b64 v29, v[2:3], v[8:9] offset1:1
	;; [unrolled: 1-line block ×5, first 2 shown]
	v_lshlrev_b32_e32 v10, 1, v25
	global_wb scope:SCOPE_SE
	s_wait_dscnt 0x0
	s_barrier_signal -1
	s_barrier_wait -1
	global_inv scope:SCOPE_SE
	global_load_b64 v[8:9], v33, s[8:9]
	ds_load_2addr_b64 v[0:3], v23 offset0:20 offset1:130
	v_lshlrev_b32_e32 v4, 1, v42
	v_lshlrev_b32_e32 v5, 1, v43
	;; [unrolled: 1-line block ×3, first 2 shown]
	ds_load_2addr_b64 v[16:19], v22 offset0:56 offset1:166
	v_and_or_b32 v10, 0x3fc, v10, v28
	v_and_or_b32 v12, 0xfc, v4, v28
	;; [unrolled: 1-line block ×3, first 2 shown]
	s_delay_alu instid0(VALU_DEP_3) | instskip(NEXT) | instid1(VALU_DEP_3)
	v_lshl_add_u32 v33, v10, 3, 0
	v_lshl_add_u32 v30, v12, 3, 0
	s_delay_alu instid0(VALU_DEP_3)
	v_lshl_add_u32 v32, v14, 3, 0
	s_wait_loadcnt_dscnt 0x1
	v_mul_f32_e32 v12, v9, v1
	v_and_or_b32 v13, 0x1fc, v5, v28
	ds_load_2addr_b64 v[4:7], v21 offset0:112 offset1:222
	s_wait_dscnt 0x1
	v_dual_mul_f32 v10, v9, v19 :: v_dual_lshlrev_b32 v11, 1, v26
	v_fmac_f32_e32 v12, v8, v0
	v_lshl_add_u32 v31, v13, 3, 0
	s_delay_alu instid0(VALU_DEP_3) | instskip(NEXT) | instid1(VALU_DEP_1)
	v_dual_mul_f32 v13, v9, v0 :: v_dual_fmac_f32 v10, v8, v18
	v_fma_f32 v0, v8, v1, -v13
	s_wait_dscnt 0x0
	v_mul_f32_e32 v36, v9, v5
	v_and_or_b32 v11, 0x7fc, v11, v28
	ds_load_2addr_b64 v[22:25], v48 offset1:110
	ds_load_2addr_b64 v[26:29], v20 offset0:92 offset1:202
	v_mul_f32_e32 v35, v9, v3
	v_mul_f32_e32 v15, v9, v4
	;; [unrolled: 1-line block ×3, first 2 shown]
	v_lshl_add_u32 v34, v11, 3, 0
	v_dual_mul_f32 v11, v9, v18 :: v_dual_fmac_f32 v36, v8, v4
	v_fmac_f32_e32 v35, v8, v2
	global_wb scope:SCOPE_SE
	s_wait_dscnt 0x0
	s_barrier_signal -1
	v_fma_f32 v11, v8, v19, -v11
	v_mul_f32_e32 v14, v9, v2
	v_mul_f32_e32 v9, v9, v6
	s_barrier_wait -1
	global_inv scope:SCOPE_SE
	v_fma_f32 v1, v8, v3, -v14
	v_sub_f32_e32 v2, v22, v10
	v_fma_f32 v4, v8, v5, -v15
	v_sub_f32_e32 v14, v24, v12
	v_dual_fmac_f32 v37, v8, v6 :: v_dual_sub_f32 v6, v26, v35
	v_fma_f32 v5, v8, v7, -v9
	v_sub_f32_e32 v3, v23, v11
	s_delay_alu instid0(VALU_DEP_3)
	v_dual_sub_f32 v15, v25, v0 :: v_dual_sub_f32 v18, v16, v37
	v_dual_sub_f32 v7, v27, v1 :: v_dual_sub_f32 v10, v28, v36
	v_sub_f32_e32 v11, v29, v4
	v_sub_f32_e32 v19, v17, v5
	v_fma_f32 v0, v22, 2.0, -v2
	v_fma_f32 v1, v23, 2.0, -v3
	;; [unrolled: 1-line block ×10, first 2 shown]
	ds_store_2addr_b64 v30, v[0:1], v[2:3] offset1:2
	ds_store_2addr_b64 v31, v[12:13], v[14:15] offset1:2
	;; [unrolled: 1-line block ×5, first 2 shown]
	global_wb scope:SCOPE_SE
	s_wait_dscnt 0x0
	s_barrier_signal -1
	s_barrier_wait -1
	global_inv scope:SCOPE_SE
	s_and_saveexec_b32 s1, s0
	s_cbranch_execz .LBB0_21
; %bb.20:
	v_add_nc_u32_e32 v4, 0x800, v48
	v_add_nc_u32_e32 v8, 0x1000, v48
	ds_load_2addr_b64 v[0:3], v48 offset1:100
	ds_load_2addr_b64 v[12:15], v20 offset0:72 offset1:172
	ds_load_2addr_b64 v[4:7], v4 offset0:144 offset1:244
	;; [unrolled: 1-line block ×4, first 2 shown]
	ds_load_b64 v[46:47], v48 offset:8000
.LBB0_21:
	s_wait_alu 0xfffe
	s_or_b32 exec_lo, exec_lo, s1
	global_wb scope:SCOPE_SE
	s_wait_dscnt 0x0
	s_barrier_signal -1
	s_barrier_wait -1
	global_inv scope:SCOPE_SE
	s_and_saveexec_b32 s1, s0
	s_cbranch_execz .LBB0_23
; %bb.22:
	v_and_b32_e32 v49, 3, v42
	v_lshrrev_b32_e32 v50, 2, v42
	s_delay_alu instid0(VALU_DEP_2) | instskip(NEXT) | instid1(VALU_DEP_2)
	v_mul_u32_u24_e32 v20, 10, v49
	v_mul_u32_u24_e32 v50, 44, v50
	s_delay_alu instid0(VALU_DEP_2) | instskip(NEXT) | instid1(VALU_DEP_2)
	v_lshlrev_b32_e32 v20, 3, v20
	v_or_b32_e32 v49, v50, v49
	s_clause 0x4
	global_load_b128 v[32:35], v20, s[8:9] offset:16
	global_load_b128 v[36:39], v20, s[8:9] offset:80
	;; [unrolled: 1-line block ×5, first 2 shown]
	v_lshl_add_u32 v49, v49, 3, 0
	s_wait_loadcnt 0x4
	v_mul_f32_e32 v50, v3, v33
	s_wait_loadcnt 0x3
	v_mul_f32_e32 v51, v47, v39
	s_wait_loadcnt 0x2
	v_dual_mul_f32 v39, v46, v39 :: v_dual_mul_f32 v54, v15, v25
	v_dual_mul_f32 v33, v2, v33 :: v_dual_mul_f32 v52, v13, v35
	;; [unrolled: 1-line block ×3, first 2 shown]
	v_mul_f32_e32 v37, v18, v37
	s_wait_loadcnt 0x0
	v_dual_mul_f32 v35, v12, v35 :: v_dual_mul_f32 v58, v7, v21
	v_dual_mul_f32 v55, v17, v31 :: v_dual_fmac_f32 v50, v2, v32
	v_dual_mul_f32 v31, v16, v31 :: v_dual_fmac_f32 v54, v14, v24
	;; [unrolled: 1-line block ×3, first 2 shown]
	s_delay_alu instid0(VALU_DEP_4)
	v_dual_mul_f32 v57, v11, v29 :: v_dual_fmac_f32 v58, v6, v20
	v_fma_f32 v2, v3, v32, -v33
	v_dual_fmac_f32 v52, v12, v34 :: v_dual_fmac_f32 v53, v18, v36
	v_mul_f32_e32 v59, v9, v23
	v_fma_f32 v18, v19, v36, -v37
	v_fma_f32 v3, v13, v34, -v35
	v_mul_f32_e32 v23, v8, v23
	v_fma_f32 v14, v17, v30, -v31
	v_fma_f32 v12, v15, v24, -v25
	s_delay_alu instid0(VALU_DEP_4) | instskip(NEXT) | instid1(VALU_DEP_4)
	v_dual_mul_f32 v21, v6, v21 :: v_dual_sub_f32 v24, v3, v18
	v_fma_f32 v6, v9, v22, -v23
	s_delay_alu instid0(VALU_DEP_2)
	v_fma_f32 v7, v7, v20, -v21
	v_mul_f32_e32 v29, v10, v29
	v_fmac_f32_e32 v57, v10, v28
	v_fmac_f32_e32 v51, v46, v38
	v_fma_f32 v38, v47, v38, -v39
	v_mul_f32_e32 v27, v4, v27
	v_sub_f32_e32 v10, v52, v53
	v_add_f32_e32 v20, v7, v6
	v_fma_f32 v4, v11, v28, -v29
	v_fmac_f32_e32 v59, v8, v22
	v_sub_f32_e32 v22, v2, v38
	v_fma_f32 v5, v5, v26, -v27
	v_fmac_f32_e32 v55, v16, v30
	v_sub_f32_e32 v30, v7, v6
	v_sub_f32_e32 v16, v56, v57
	;; [unrolled: 1-line block ×3, first 2 shown]
	v_dual_sub_f32 v28, v5, v4 :: v_dual_sub_f32 v19, v58, v59
	v_add_f32_e32 v9, v2, v38
	s_delay_alu instid0(VALU_DEP_3) | instskip(SKIP_3) | instid1(VALU_DEP_4)
	v_dual_sub_f32 v13, v54, v55 :: v_dual_mul_f32 v46, 0xbe903f40, v8
	v_add_f32_e32 v11, v3, v18
	v_sub_f32_e32 v26, v12, v14
	v_add_f32_e32 v2, v1, v2
	v_dual_mul_f32 v34, 0x3f68dda4, v13 :: v_dual_add_f32 v27, v0, v50
	v_mul_f32_e32 v68, 0x3ed4b147, v20
	v_mul_f32_e32 v32, 0xbf7d64f0, v8
	v_dual_mul_f32 v60, 0x3f68dda4, v16 :: v_dual_add_f32 v15, v12, v14
	v_mul_f32_e32 v36, 0xbf4178ce, v19
	v_mul_f32_e32 v61, 0xbf7d64f0, v19
	v_add_f32_e32 v17, v5, v4
	v_dual_add_f32 v21, v50, v51 :: v_dual_mul_f32 v62, 0xbe903f40, v22
	v_dual_add_f32 v23, v52, v53 :: v_dual_mul_f32 v66, 0x3f575c64, v15
	;; [unrolled: 1-line block ×3, first 2 shown]
	v_dual_mul_f32 v33, 0x3e903f40, v10 :: v_dual_add_f32 v2, v2, v3
	v_mul_f32_e32 v35, 0xbf0a6770, v16
	v_dual_mul_f32 v39, 0x3e903f40, v24 :: v_dual_mul_f32 v84, 0x3e903f40, v26
	v_dual_mul_f32 v50, 0xbf4178ce, v13 :: v_dual_mul_f32 v69, 0xbf4178ce, v22
	s_delay_alu instid0(VALU_DEP_4)
	v_dual_mul_f32 v71, 0x3ed4b147, v9 :: v_dual_add_f32 v2, v2, v12
	v_dual_mul_f32 v72, 0xbf27a4f4, v11 :: v_dual_mul_f32 v81, 0xbf27a4f4, v17
	v_dual_mul_f32 v75, 0x3f575c64, v20 :: v_dual_mul_f32 v78, 0x3f575c64, v9
	v_mul_f32_e32 v47, 0x3f0a6770, v10
	v_dual_mul_f32 v76, 0xbf68dda4, v22 :: v_dual_add_f32 v3, v27, v52
	v_dual_mul_f32 v80, 0xbe11bafb, v15 :: v_dual_fmamk_f32 v93, v9, 0xbe11bafb, v32
	v_mul_f32_e32 v27, 0xbf4178ce, v26
	v_mul_f32_e32 v52, 0x3f68dda4, v26
	;; [unrolled: 1-line block ×4, first 2 shown]
	v_dual_mul_f32 v65, 0xbe11bafb, v11 :: v_dual_fmamk_f32 v104, v20, 0xbe11bafb, v61
	v_mul_f32_e32 v37, 0xbf7d64f0, v22
	v_mul_f32_e32 v22, 0xbf0a6770, v22
	v_fmamk_f32 v100, v9, 0xbf75a155, v46
	v_fma_f32 v46, 0xbf75a155, v9, -v46
	v_fma_f32 v9, 0xbe11bafb, v9, -v32
	v_dual_add_f32 v29, v56, v57 :: v_dual_mul_f32 v70, 0x3f7d64f0, v24
	v_dual_add_f32 v31, v58, v59 :: v_dual_mul_f32 v74, 0xbe11bafb, v17
	v_dual_mul_f32 v63, 0x3f0a6770, v24 :: v_dual_mul_f32 v92, 0x3f0a6770, v30
	v_dual_mul_f32 v67, 0xbf75a155, v17 :: v_dual_mul_f32 v82, 0xbf75a155, v20
	v_dual_mul_f32 v73, 0xbf75a155, v15 :: v_dual_fmamk_f32 v94, v11, 0xbf75a155, v33
	v_mul_f32_e32 v77, 0xbf4178ce, v24
	v_mul_f32_e32 v79, 0x3ed4b147, v11
	v_dual_mul_f32 v24, 0xbf68dda4, v24 :: v_dual_add_f32 v3, v3, v54
	v_dual_mul_f32 v85, 0xbf0a6770, v28 :: v_dual_fmamk_f32 v114, v19, 0xbf0a6770, v75
	v_dual_mul_f32 v86, 0x3f68dda4, v28 :: v_dual_mul_f32 v91, 0x3f68dda4, v30
	v_mul_f32_e32 v87, 0xbe903f40, v28
	v_mul_f32_e32 v88, 0x3f7d64f0, v28
	;; [unrolled: 1-line block ×3, first 2 shown]
	v_dual_mul_f32 v90, 0xbf7d64f0, v30 :: v_dual_fmamk_f32 v113, v16, 0xbf7d64f0, v74
	v_dual_fmamk_f32 v96, v17, 0x3f575c64, v35 :: v_dual_fmamk_f32 v125, v31, 0x3f575c64, v92
	v_fma_f32 v99, 0xbf75a155, v23, -v39
	v_fmamk_f32 v102, v15, 0xbf27a4f4, v50
	v_dual_fmamk_f32 v103, v17, 0x3ed4b147, v60 :: v_dual_fmamk_f32 v124, v31, 0x3ed4b147, v91
	v_fma_f32 v105, 0xbf75a155, v21, -v62
	v_fmamk_f32 v95, v15, 0x3ed4b147, v34
	v_fma_f32 v50, 0xbf27a4f4, v15, -v50
	v_fma_f32 v60, 0x3ed4b147, v17, -v60
	v_fma_f32 v61, 0xbe11bafb, v20, -v61
	v_fmamk_f32 v108, v10, 0xbf7d64f0, v65
	v_fma_f32 v98, 0xbe11bafb, v21, -v37
	v_fmac_f32_e32 v62, 0xbf75a155, v21
	v_fmamk_f32 v32, v19, 0xbf68dda4, v68
	v_fma_f32 v15, 0x3ed4b147, v15, -v34
	v_fma_f32 v17, 0x3f575c64, v17, -v35
	v_fmac_f32_e32 v37, 0xbe11bafb, v21
	v_dual_fmamk_f32 v34, v8, 0x3f68dda4, v71 :: v_dual_add_f32 v9, v1, v9
	v_fmamk_f32 v107, v8, 0x3f4178ce, v64
	v_fmac_f32_e32 v64, 0xbf4178ce, v8
	s_delay_alu instid0(VALU_DEP_3)
	v_dual_fmac_f32 v71, 0xbf68dda4, v8 :: v_dual_add_f32 v34, v1, v34
	v_fmac_f32_e32 v39, 0xbf75a155, v23
	v_mul_f32_e32 v89, 0xbf4178ce, v30
	v_mul_f32_e32 v30, 0xbe903f40, v30
	v_fmamk_f32 v111, v10, 0x3f4178ce, v72
	v_fmac_f32_e32 v72, 0xbf4178ce, v10
	v_dual_fmamk_f32 v97, v20, 0xbf27a4f4, v36 :: v_dual_fmamk_f32 v12, v23, 0xbf27a4f4, v77
	v_fma_f32 v20, 0xbf27a4f4, v20, -v36
	v_fmamk_f32 v36, v8, 0x3f0a6770, v78
	v_fmamk_f32 v101, v11, 0x3f575c64, v47
	v_fma_f32 v47, 0x3f575c64, v11, -v47
	v_fma_f32 v11, 0xbf75a155, v11, -v33
	v_fmamk_f32 v33, v21, 0xbf27a4f4, v69
	v_fmac_f32_e32 v78, 0xbf0a6770, v8
	v_fmamk_f32 v8, v21, 0x3f575c64, v22
	v_fmamk_f32 v35, v21, 0x3ed4b147, v76
	v_fma_f32 v69, 0xbf27a4f4, v21, -v69
	v_fma_f32 v76, 0x3ed4b147, v21, -v76
	;; [unrolled: 1-line block ×3, first 2 shown]
	v_add_f32_e32 v8, v0, v8
	v_fma_f32 v106, 0x3f575c64, v23, -v63
	v_dual_fmac_f32 v63, 0x3f575c64, v23 :: v_dual_add_f32 v46, v1, v46
	v_fmamk_f32 v109, v13, 0x3f0a6770, v66
	v_fmamk_f32 v110, v16, 0x3e903f40, v67
	;; [unrolled: 1-line block ×3, first 2 shown]
	v_dual_fmamk_f32 v112, v13, 0xbe903f40, v73 :: v_dual_add_f32 v33, v0, v33
	v_fmac_f32_e32 v65, 0x3f7d64f0, v10
	v_dual_fmac_f32 v66, 0xbf0a6770, v13 :: v_dual_add_f32 v71, v1, v71
	v_fmac_f32_e32 v73, 0x3e903f40, v13
	v_fmac_f32_e32 v67, 0xbe903f40, v16
	v_dual_fmac_f32 v74, 0x3f7d64f0, v16 :: v_dual_add_f32 v69, v0, v69
	v_dual_fmac_f32 v68, 0x3f68dda4, v19 :: v_dual_add_f32 v3, v3, v56
	;; [unrolled: 1-line block ×3, first 2 shown]
	v_fma_f32 v70, 0xbe11bafb, v23, -v70
	v_fma_f32 v77, 0xbf27a4f4, v23, -v77
	;; [unrolled: 1-line block ×3, first 2 shown]
	v_fmac_f32_e32 v52, 0x3ed4b147, v25
	v_dual_fmamk_f32 v54, v10, 0x3f68dda4, v79 :: v_dual_add_f32 v37, v0, v37
	v_dual_fmac_f32 v79, 0xbf68dda4, v10 :: v_dual_add_f32 v64, v1, v64
	v_dual_fmamk_f32 v10, v13, 0x3f7d64f0, v80 :: v_dual_add_f32 v35, v0, v35
	v_fmac_f32_e32 v80, 0xbf7d64f0, v13
	v_dual_fmamk_f32 v13, v16, 0x3f4178ce, v81 :: v_dual_add_f32 v2, v2, v5
	v_fmac_f32_e32 v81, 0xbf4178ce, v16
	v_fmamk_f32 v16, v19, 0x3e903f40, v82
	v_fmac_f32_e32 v82, 0xbe903f40, v19
	v_fmamk_f32 v19, v23, 0x3ed4b147, v24
	v_fma_f32 v23, 0x3ed4b147, v23, -v24
	v_fma_f32 v24, 0xbf27a4f4, v25, -v27
	v_dual_fmac_f32 v27, 0xbf27a4f4, v25 :: v_dual_fmamk_f32 v122, v29, 0xbf27a4f4, v28
	v_fmamk_f32 v116, v25, 0x3f575c64, v83
	v_fma_f32 v83, 0x3f575c64, v25, -v83
	v_dual_fmamk_f32 v117, v25, 0xbf75a155, v84 :: v_dual_add_f32 v46, v47, v46
	v_fma_f32 v84, 0xbf75a155, v25, -v84
	v_fmamk_f32 v118, v25, 0xbe11bafb, v26
	v_fma_f32 v25, 0xbe11bafb, v25, -v26
	v_fma_f32 v26, 0x3ed4b147, v29, -v86
	v_fmac_f32_e32 v86, 0x3ed4b147, v29
	v_fma_f32 v119, 0x3f575c64, v29, -v85
	v_dual_fmac_f32 v85, 0x3f575c64, v29 :: v_dual_add_f32 v12, v12, v35
	v_fmamk_f32 v120, v29, 0xbf75a155, v87
	v_fma_f32 v87, 0xbf75a155, v29, -v87
	v_fmamk_f32 v121, v29, 0xbe11bafb, v88
	v_fma_f32 v88, 0xbe11bafb, v29, -v88
	v_fma_f32 v28, 0xbf27a4f4, v29, -v28
	;; [unrolled: 1-line block ×3, first 2 shown]
	v_dual_fmac_f32 v90, 0xbe11bafb, v31 :: v_dual_add_f32 v9, v11, v9
	v_fma_f32 v123, 0xbf27a4f4, v31, -v89
	v_dual_fmac_f32 v89, 0xbf27a4f4, v31 :: v_dual_add_f32 v22, v22, v33
	v_fma_f32 v91, 0x3ed4b147, v31, -v91
	v_fma_f32 v92, 0x3f575c64, v31, -v92
	v_fmamk_f32 v126, v31, 0xbf75a155, v30
	v_fma_f32 v30, 0xbf75a155, v31, -v30
	v_add_f32_e32 v31, v1, v93
	v_dual_add_f32 v93, v0, v98 :: v_dual_add_f32 v98, v1, v100
	v_add_f32_e32 v100, v0, v105
	v_add_f32_e32 v62, v0, v62
	v_add_f32_e32 v36, v1, v36
	v_dual_add_f32 v0, v0, v21 :: v_dual_add_f32 v105, v1, v107
	v_add_f32_e32 v1, v1, v78
	v_add_f32_e32 v5, v94, v31
	;; [unrolled: 4-line block ×3, first 2 shown]
	v_dual_add_f32 v33, v111, v34 :: v_dual_add_f32 v2, v2, v7
	v_dual_add_f32 v34, v54, v36 :: v_dual_add_f32 v3, v3, v58
	;; [unrolled: 1-line block ×3, first 2 shown]
	v_add_f32_e32 v0, v23, v0
	v_add_f32_e32 v62, v108, v105
	v_dual_add_f32 v8, v19, v8 :: v_dual_add_f32 v19, v70, v69
	v_add_f32_e32 v7, v65, v64
	v_dual_add_f32 v1, v79, v1 :: v_dual_add_f32 v24, v24, v56
	v_dual_add_f32 v5, v95, v5 :: v_dual_add_f32 v22, v116, v22
	;; [unrolled: 1-line block ×4, first 2 shown]
	v_add_f32_e32 v31, v50, v46
	v_dual_add_f32 v27, v27, v47 :: v_dual_add_f32 v10, v10, v34
	v_dual_add_f32 v9, v15, v9 :: v_dual_add_f32 v2, v2, v6
	v_dual_add_f32 v15, v112, v33 :: v_dual_add_f32 v6, v66, v7
	v_dual_add_f32 v3, v3, v59 :: v_dual_add_f32 v22, v120, v22
	v_add_f32_e32 v33, v84, v36
	v_dual_add_f32 v11, v52, v11 :: v_dual_add_f32 v24, v26, v24
	v_dual_add_f32 v7, v83, v19 :: v_dual_add_f32 v28, v28, v0
	s_delay_alu instid0(VALU_DEP_4)
	v_dual_add_f32 v19, v73, v35 :: v_dual_add_f32 v34, v3, v57
	v_dual_add_f32 v26, v86, v27 :: v_dual_add_f32 v21, v119, v21
	;; [unrolled: 1-line block ×3, first 2 shown]
	v_add_f32_e32 v13, v13, v10
	v_add_f32_e32 v33, v88, v33
	;; [unrolled: 1-line block ×4, first 2 shown]
	v_dual_add_f32 v37, v109, v62 :: v_dual_add_f32 v8, v118, v8
	s_delay_alu instid0(VALU_DEP_3) | instskip(NEXT) | instid1(VALU_DEP_3)
	v_dual_add_f32 v13, v16, v13 :: v_dual_add_f32 v16, v31, v14
	v_dual_add_f32 v9, v20, v9 :: v_dual_add_f32 v20, v34, v55
	s_delay_alu instid0(VALU_DEP_3) | instskip(SKIP_1) | instid1(VALU_DEP_3)
	v_add_f32_e32 v17, v122, v8
	v_dual_add_f32 v1, v80, v1 :: v_dual_add_f32 v36, v87, v7
	v_dual_add_f32 v15, v113, v15 :: v_dual_add_f32 v20, v20, v53
	v_add_f32_e32 v11, v85, v11
	v_dual_add_f32 v5, v96, v5 :: v_dual_add_f32 v2, v29, v24
	v_dual_add_f32 v35, v67, v6 :: v_dual_add_f32 v10, v125, v12
	v_add_f32_e32 v12, v126, v17
	s_delay_alu instid0(VALU_DEP_4)
	v_dual_add_f32 v27, v110, v37 :: v_dual_add_f32 v8, v89, v11
	v_dual_add_f32 v23, v103, v23 :: v_dual_add_f32 v6, v124, v22
	v_add_f32_e32 v19, v74, v19
	v_add_f32_e32 v4, v90, v26
	v_dual_add_f32 v0, v123, v21 :: v_dual_add_f32 v21, v16, v18
	v_dual_add_f32 v37, v81, v1 :: v_dual_add_f32 v20, v20, v51
	v_dual_add_f32 v14, v91, v36 :: v_dual_add_f32 v11, v114, v15
	v_add_f32_e32 v1, v97, v5
	v_add_f32_e32 v5, v61, v25
	;; [unrolled: 1-line block ×5, first 2 shown]
	v_dual_add_f32 v17, v75, v19 :: v_dual_add_f32 v18, v30, v28
	v_dual_add_f32 v16, v92, v33 :: v_dual_add_f32 v21, v21, v38
	v_add_f32_e32 v19, v82, v37
	ds_store_2addr_b64 v49, v[10:11], v[8:9] offset0:8 offset1:12
	ds_store_2addr_b64 v49, v[6:7], v[4:5] offset0:16 offset1:20
	;; [unrolled: 1-line block ×4, first 2 shown]
	ds_store_2addr_b64 v49, v[20:21], v[12:13] offset1:4
	ds_store_b64 v49, v[18:19] offset:320
.LBB0_23:
	s_wait_alu 0xfffe
	s_or_b32 exec_lo, exec_lo, s1
	v_and_b32_e32 v0, 0xff, v42
	v_and_b32_e32 v1, 0xff, v43
	global_wb scope:SCOPE_SE
	s_wait_dscnt 0x0
	s_barrier_signal -1
	s_barrier_wait -1
	v_mul_lo_u16 v0, 0xbb, v0
	global_inv scope:SCOPE_SE
	v_lshrrev_b16 v53, 13, v0
	v_mul_lo_u16 v0, 0xbb, v1
	s_delay_alu instid0(VALU_DEP_2) | instskip(NEXT) | instid1(VALU_DEP_2)
	v_mul_lo_u16 v1, v53, 44
	v_lshrrev_b16 v54, 13, v0
	s_delay_alu instid0(VALU_DEP_2) | instskip(NEXT) | instid1(VALU_DEP_2)
	v_sub_nc_u16 v0, v42, v1
	v_mul_lo_u16 v1, v54, 44
	s_delay_alu instid0(VALU_DEP_2) | instskip(NEXT) | instid1(VALU_DEP_2)
	v_and_b32_e32 v55, 0xff, v0
	v_sub_nc_u16 v0, v43, v1
	s_delay_alu instid0(VALU_DEP_2) | instskip(SKIP_4) | instid1(VALU_DEP_3)
	v_lshlrev_b32_e32 v1, 5, v55
	global_load_b128 v[6:9], v1, s[8:9] offset:336
	v_and_b32_e32 v56, 0xff, v0
	v_add_nc_u32_e32 v4, 0xc00, v48
	v_add_nc_u32_e32 v3, 0x1400, v48
	v_lshlrev_b32_e32 v0, 5, v56
	s_clause 0x2
	global_load_b128 v[10:13], v1, s[8:9] offset:352
	global_load_b128 v[14:17], v0, s[8:9] offset:336
	;; [unrolled: 1-line block ×3, first 2 shown]
	v_add_nc_u32_e32 v5, 0x400, v48
	v_add_nc_u32_e32 v2, 0x1800, v48
	ds_load_2addr_b64 v[22:25], v48 offset1:110
	ds_load_2addr_b64 v[26:29], v5 offset0:92 offset1:202
	ds_load_2addr_b64 v[30:33], v4 offset0:56 offset1:166
	;; [unrolled: 1-line block ×4, first 2 shown]
	v_dual_mov_b32 v1, 0 :: v_dual_lshlrev_b32 v0, 2, v42
	global_wb scope:SCOPE_SE
	s_wait_loadcnt_dscnt 0x0
	s_barrier_signal -1
	s_barrier_wait -1
	global_inv scope:SCOPE_SE
	v_lshlrev_b64_e32 v[38:39], 3, v[0:1]
	v_lshlrev_b32_e32 v0, 2, v43
	v_and_b32_e32 v43, 0xffff, v54
	v_lshlrev_b32_e32 v54, 3, v56
	s_delay_alu instid0(VALU_DEP_4)
	v_add_co_u32 v38, s0, s8, v38
	s_wait_alu 0xf1ff
	v_add_co_ci_u32_e64 v39, s0, s9, v39, s0
	v_dual_mul_f32 v56, v13, v50 :: v_dual_mul_f32 v57, v15, v29
	v_mul_f32_e32 v13, v13, v49
	v_lshlrev_b64_e32 v[46:47], 3, v[0:1]
	v_dual_mul_f32 v15, v15, v28 :: v_dual_and_b32 v0, 0xffff, v53
	s_delay_alu instid0(VALU_DEP_4) | instskip(SKIP_2) | instid1(VALU_DEP_4)
	v_fmac_f32_e32 v56, v12, v49
	v_mul_u32_u24_e32 v43, 0x6e0, v43
	v_mul_f32_e32 v58, v33, v17
	v_mul_u32_u24_e32 v0, 0x6e0, v0
	v_mul_f32_e32 v60, v52, v21
	v_mul_f32_e32 v17, v32, v17
	v_add3_u32 v43, 0, v43, v54
	v_mul_f32_e32 v54, v9, v31
	v_dual_fmac_f32 v58, v32, v16 :: v_dual_lshlrev_b32 v53, 3, v55
	v_mul_f32_e32 v55, v11, v35
	v_mul_f32_e32 v9, v9, v30
	;; [unrolled: 1-line block ×3, first 2 shown]
	s_delay_alu instid0(VALU_DEP_4) | instskip(SKIP_3) | instid1(VALU_DEP_3)
	v_add3_u32 v0, 0, v0, v53
	v_mul_f32_e32 v53, v7, v27
	v_mul_f32_e32 v7, v7, v26
	v_dual_fmac_f32 v54, v8, v30 :: v_dual_fmac_f32 v57, v14, v28
	v_dual_fmac_f32 v60, v51, v20 :: v_dual_fmac_f32 v53, v6, v26
	v_fmac_f32_e32 v55, v10, v34
	v_mul_f32_e32 v59, v37, v19
	v_mul_f32_e32 v19, v36, v19
	v_fma_f32 v6, v6, v27, -v7
	v_fma_f32 v7, v8, v31, -v9
	;; [unrolled: 1-line block ×6, first 2 shown]
	v_dual_sub_f32 v16, v55, v56 :: v_dual_fmac_f32 v59, v36, v18
	v_add_f32_e32 v36, v24, v57
	v_sub_f32_e32 v30, v53, v56
	v_dual_add_f32 v14, v53, v56 :: v_dual_mul_f32 v21, v51, v21
	v_dual_add_f32 v10, v54, v55 :: v_dual_sub_f32 v29, v7, v26
	v_sub_f32_e32 v12, v53, v54
	v_fma_f32 v17, v37, v18, -v19
	s_delay_alu instid0(VALU_DEP_4) | instskip(SKIP_2) | instid1(VALU_DEP_4)
	v_fma_f32 v28, v52, v20, -v21
	v_sub_f32_e32 v20, v6, v7
	v_dual_sub_f32 v21, v6, v27 :: v_dual_sub_f32 v34, v7, v6
	v_dual_sub_f32 v13, v56, v55 :: v_dual_sub_f32 v50, v11, v17
	v_dual_add_f32 v18, v23, v6 :: v_dual_add_f32 v33, v6, v27
	v_add_f32_e32 v64, v11, v17
	v_fma_f32 v6, -0.5, v10, v22
	v_dual_add_f32 v9, v22, v53 :: v_dual_sub_f32 v32, v27, v26
	v_dual_add_f32 v19, v7, v26 :: v_dual_sub_f32 v66, v8, v11
	v_dual_sub_f32 v15, v54, v53 :: v_dual_sub_f32 v52, v60, v59
	v_dual_add_f32 v37, v58, v59 :: v_dual_sub_f32 v70, v17, v28
	v_sub_f32_e32 v67, v28, v17
	v_dual_add_f32 v71, v12, v13 :: v_dual_fmamk_f32 v12, v21, 0xbf737871, v6
	v_add_f32_e32 v63, v25, v8
	v_dual_sub_f32 v35, v26, v27 :: v_dual_add_f32 v68, v8, v28
	v_add_f32_e32 v53, v57, v60
	v_dual_sub_f32 v31, v54, v55 :: v_dual_sub_f32 v62, v59, v60
	v_dual_sub_f32 v49, v8, v28 :: v_dual_add_f32 v54, v9, v54
	v_dual_sub_f32 v69, v11, v8 :: v_dual_fmac_f32 v6, 0x3f737871, v21
	v_fma_f32 v8, -0.5, v14, v22
	v_add_f32_e32 v13, v18, v7
	v_fma_f32 v7, -0.5, v19, v23
	v_fma_f32 v9, -0.5, v33, v23
	v_dual_sub_f32 v51, v57, v58 :: v_dual_add_f32 v72, v15, v16
	v_dual_add_f32 v16, v36, v58 :: v_dual_sub_f32 v61, v58, v57
	v_add_f32_e32 v32, v20, v32
	v_dual_sub_f32 v57, v57, v60 :: v_dual_add_f32 v20, v54, v55
	v_fma_f32 v10, -0.5, v37, v24
	v_add_f32_e32 v36, v66, v67
	v_add_f32_e32 v19, v63, v11
	v_fma_f32 v11, -0.5, v64, v25
	v_sub_f32_e32 v65, v58, v59
	v_fma_f32 v24, -0.5, v53, v24
	v_dual_fmac_f32 v25, -0.5, v68 :: v_dual_fmamk_f32 v14, v29, 0x3f737871, v8
	v_dual_fmac_f32 v8, 0xbf737871, v29 :: v_dual_add_f32 v33, v34, v35
	v_dual_add_f32 v22, v13, v26 :: v_dual_fmamk_f32 v13, v30, 0x3f737871, v7
	v_dual_add_f32 v20, v20, v56 :: v_dual_fmamk_f32 v15, v31, 0xbf737871, v9
	v_fmac_f32_e32 v9, 0x3f737871, v31
	v_dual_add_f32 v23, v16, v59 :: v_dual_fmac_f32 v12, 0xbf167918, v29
	v_fmac_f32_e32 v7, 0xbf737871, v30
	v_add_f32_e32 v35, v61, v62
	v_fmamk_f32 v16, v49, 0xbf737871, v10
	v_dual_fmac_f32 v10, 0x3f737871, v49 :: v_dual_add_f32 v37, v69, v70
	v_dual_add_f32 v26, v19, v17 :: v_dual_fmamk_f32 v17, v57, 0x3f737871, v11
	v_add_f32_e32 v34, v51, v52
	v_fmamk_f32 v18, v50, 0x3f737871, v24
	v_dual_fmac_f32 v24, 0xbf737871, v50 :: v_dual_fmamk_f32 v19, v65, 0xbf737871, v25
	v_fmac_f32_e32 v25, 0x3f737871, v65
	v_fmac_f32_e32 v11, 0xbf737871, v57
	v_dual_fmac_f32 v8, 0x3f167918, v21 :: v_dual_fmac_f32 v13, 0x3f167918, v31
	v_fmac_f32_e32 v14, 0xbf167918, v21
	v_dual_fmac_f32 v15, 0x3f167918, v30 :: v_dual_fmac_f32 v24, 0x3f167918, v49
	v_dual_fmac_f32 v9, 0xbf167918, v30 :: v_dual_fmac_f32 v18, 0xbf167918, v49
	v_dual_fmac_f32 v6, 0x3f167918, v29 :: v_dual_add_f32 v21, v22, v27
	v_dual_add_f32 v22, v23, v60 :: v_dual_fmac_f32 v7, 0xbf167918, v31
	v_dual_fmac_f32 v16, 0xbf167918, v50 :: v_dual_add_f32 v23, v26, v28
	v_dual_fmac_f32 v10, 0x3f167918, v50 :: v_dual_fmac_f32 v17, 0x3f167918, v65
	v_fmac_f32_e32 v19, 0x3f167918, v57
	v_fmac_f32_e32 v25, 0xbf167918, v57
	;; [unrolled: 1-line block ×3, first 2 shown]
	v_dual_fmac_f32 v12, 0x3e9e377a, v71 :: v_dual_fmac_f32 v13, 0x3e9e377a, v32
	v_dual_fmac_f32 v14, 0x3e9e377a, v72 :: v_dual_fmac_f32 v15, 0x3e9e377a, v33
	;; [unrolled: 1-line block ×8, first 2 shown]
	ds_store_2addr_b64 v0, v[20:21], v[12:13] offset1:44
	ds_store_2addr_b64 v0, v[14:15], v[8:9] offset0:88 offset1:132
	ds_store_b64 v0, v[6:7] offset:1408
	ds_store_2addr_b64 v43, v[22:23], v[16:17] offset1:44
	ds_store_2addr_b64 v43, v[18:19], v[24:25] offset0:88 offset1:132
	ds_store_b64 v43, v[10:11] offset:1408
	v_add_co_u32 v18, s0, s8, v46
	global_wb scope:SCOPE_SE
	s_wait_dscnt 0x0
	s_barrier_signal -1
	s_barrier_wait -1
	global_inv scope:SCOPE_SE
	global_load_b128 v[6:9], v[38:39], off offset:1744
	s_wait_alu 0xf1ff
	v_add_co_ci_u32_e64 v19, s0, s9, v47, s0
	s_clause 0x2
	global_load_b128 v[10:13], v[38:39], off offset:1760
	global_load_b128 v[14:17], v[18:19], off offset:1744
	;; [unrolled: 1-line block ×3, first 2 shown]
	ds_load_2addr_b64 v[22:25], v5 offset0:92 offset1:202
	ds_load_2addr_b64 v[26:29], v4 offset0:56 offset1:166
	;; [unrolled: 1-line block ×4, first 2 shown]
	ds_load_2addr_b64 v[49:52], v48 offset1:110
	global_wb scope:SCOPE_SE
	s_wait_loadcnt_dscnt 0x0
	s_barrier_signal -1
	s_barrier_wait -1
	global_inv scope:SCOPE_SE
	v_mul_f32_e32 v0, v7, v23
	v_dual_mul_f32 v7, v7, v22 :: v_dual_mul_f32 v38, v9, v27
	v_mul_f32_e32 v46, v15, v25
	v_mul_f32_e32 v54, v37, v21
	s_delay_alu instid0(VALU_DEP_4) | instskip(NEXT) | instid1(VALU_DEP_4)
	v_fmac_f32_e32 v0, v6, v22
	v_fma_f32 v6, v6, v23, -v7
	v_dual_mul_f32 v43, v13, v35 :: v_dual_fmac_f32 v38, v8, v26
	s_delay_alu instid0(VALU_DEP_4) | instskip(NEXT) | instid1(VALU_DEP_2)
	v_dual_mul_f32 v39, v11, v31 :: v_dual_fmac_f32 v54, v36, v20
	v_dual_fmac_f32 v46, v14, v24 :: v_dual_fmac_f32 v43, v12, v34
	v_mul_f32_e32 v13, v13, v34
	v_mul_f32_e32 v9, v9, v26
	;; [unrolled: 1-line block ×3, first 2 shown]
	s_delay_alu instid0(VALU_DEP_3)
	v_fma_f32 v23, v12, v35, -v13
	v_sub_f32_e32 v12, v0, v38
	v_fmac_f32_e32 v39, v10, v30
	v_mul_f32_e32 v15, v15, v24
	v_fma_f32 v7, v8, v27, -v9
	v_mul_f32_e32 v47, v29, v17
	v_mul_f32_e32 v17, v28, v17
	v_dual_add_f32 v9, v49, v0 :: v_dual_sub_f32 v26, v38, v39
	v_fma_f32 v8, v14, v25, -v15
	v_dual_add_f32 v14, v0, v43 :: v_dual_sub_f32 v15, v38, v0
	v_sub_f32_e32 v0, v0, v43
	v_fma_f32 v22, v10, v31, -v11
	s_delay_alu instid0(VALU_DEP_1) | instskip(NEXT) | instid1(VALU_DEP_1)
	v_dual_mul_f32 v21, v36, v21 :: v_dual_sub_f32 v30, v22, v23
	v_fma_f32 v24, v37, v20, -v21
	v_dual_sub_f32 v20, v6, v7 :: v_dual_fmac_f32 v47, v28, v16
	v_add_f32_e32 v28, v6, v23
	v_fma_f32 v11, v29, v16, -v17
	v_mul_f32_e32 v53, v33, v19
	v_mul_f32_e32 v19, v32, v19
	v_dual_sub_f32 v21, v6, v23 :: v_dual_add_f32 v62, v8, v24
	s_delay_alu instid0(VALU_DEP_4) | instskip(NEXT) | instid1(VALU_DEP_3)
	v_dual_sub_f32 v25, v7, v22 :: v_dual_sub_f32 v60, v8, v11
	v_fma_f32 v17, v33, v18, -v19
	v_sub_f32_e32 v29, v7, v6
	s_delay_alu instid0(VALU_DEP_2) | instskip(SKIP_4) | instid1(VALU_DEP_4)
	v_dual_add_f32 v57, v52, v8 :: v_dual_sub_f32 v34, v11, v17
	v_dual_fmac_f32 v53, v32, v18 :: v_dual_sub_f32 v64, v17, v24
	v_add_f32_e32 v58, v11, v17
	v_add_f32_e32 v10, v38, v39
	;; [unrolled: 1-line block ×3, first 2 shown]
	v_sub_f32_e32 v56, v53, v54
	v_dual_add_f32 v32, v47, v53 :: v_dual_sub_f32 v33, v8, v24
	s_delay_alu instid0(VALU_DEP_4) | instskip(SKIP_1) | instid1(VALU_DEP_3)
	v_fma_f32 v6, -0.5, v10, v49
	v_dual_sub_f32 v27, v23, v22 :: v_dual_sub_f32 v36, v54, v53
	v_fma_f32 v10, -0.5, v32, v51
	v_sub_f32_e32 v63, v11, v8
	v_fma_f32 v8, -0.5, v14, v49
	v_add_f32_e32 v31, v51, v46
	v_add_f32_e32 v37, v46, v54
	v_sub_f32_e32 v55, v47, v46
	v_sub_f32_e32 v16, v39, v43
	v_fmamk_f32 v14, v25, 0x3f737871, v8
	v_dual_fmac_f32 v8, 0xbf737871, v25 :: v_dual_sub_f32 v35, v46, v47
	v_dual_sub_f32 v46, v46, v54 :: v_dual_sub_f32 v13, v43, v39
	v_add_f32_e32 v38, v9, v38
	v_add_f32_e32 v19, v7, v22
	v_fma_f32 v9, -0.5, v28, v50
	v_sub_f32_e32 v61, v24, v17
	v_add_f32_e32 v65, v12, v13
	v_dual_add_f32 v13, v18, v7 :: v_dual_fmamk_f32 v12, v21, 0xbf737871, v6
	v_add_f32_e32 v27, v20, v27
	v_add_f32_e32 v20, v38, v39
	v_fma_f32 v7, -0.5, v19, v50
	v_fmac_f32_e32 v6, 0x3f737871, v21
	v_dual_fmac_f32 v12, 0xbf167918, v25 :: v_dual_add_f32 v19, v57, v11
	v_add_f32_e32 v28, v29, v30
	v_add_f32_e32 v30, v55, v56
	s_delay_alu instid0(VALU_DEP_4)
	v_dual_fmac_f32 v6, 0x3f167918, v25 :: v_dual_add_f32 v29, v35, v36
	v_add_f32_e32 v20, v20, v43
	v_fma_f32 v11, -0.5, v58, v52
	v_fmac_f32_e32 v52, -0.5, v62
	v_add_f32_e32 v36, v19, v17
	v_dual_sub_f32 v59, v47, v53 :: v_dual_add_f32 v22, v13, v22
	v_add_f32_e32 v49, v15, v16
	v_dual_add_f32 v16, v31, v47 :: v_dual_fmamk_f32 v13, v0, 0x3f737871, v7
	v_fmac_f32_e32 v7, 0xbf737871, v0
	v_fmamk_f32 v15, v26, 0xbf737871, v9
	v_fmac_f32_e32 v9, 0x3f737871, v26
	s_delay_alu instid0(VALU_DEP_4)
	v_dual_add_f32 v35, v16, v53 :: v_dual_fmamk_f32 v16, v33, 0xbf737871, v10
	v_fmac_f32_e32 v10, 0x3f737871, v33
	v_add_f32_e32 v32, v63, v64
	v_fma_f32 v51, -0.5, v37, v51
	v_fmamk_f32 v17, v46, 0x3f737871, v11
	v_fmac_f32_e32 v16, 0xbf167918, v34
	v_fmamk_f32 v19, v59, 0xbf737871, v52
	v_fmac_f32_e32 v52, 0x3f737871, v59
	;; [unrolled: 2-line block ×3, first 2 shown]
	v_fmac_f32_e32 v11, 0xbf737871, v46
	v_add_f32_e32 v31, v60, v61
	v_dual_fmac_f32 v8, 0x3f167918, v21 :: v_dual_fmac_f32 v13, 0x3f167918, v26
	v_dual_fmac_f32 v7, 0xbf167918, v26 :: v_dual_fmac_f32 v18, 0xbf167918, v33
	;; [unrolled: 1-line block ×3, first 2 shown]
	v_fmac_f32_e32 v17, 0x3f167918, v59
	v_dual_fmac_f32 v14, 0xbf167918, v21 :: v_dual_add_f32 v21, v22, v23
	v_dual_fmac_f32 v15, 0x3f167918, v0 :: v_dual_fmac_f32 v10, 0x3f167918, v34
	v_fmac_f32_e32 v19, 0x3f167918, v46
	v_fmac_f32_e32 v51, 0x3f167918, v33
	v_dual_fmac_f32 v11, 0xbf167918, v59 :: v_dual_add_f32 v22, v35, v54
	v_dual_add_f32 v23, v36, v24 :: v_dual_fmac_f32 v12, 0x3e9e377a, v65
	v_dual_fmac_f32 v6, 0x3e9e377a, v65 :: v_dual_fmac_f32 v13, 0x3e9e377a, v27
	v_dual_fmac_f32 v9, 0x3e9e377a, v28 :: v_dual_fmac_f32 v16, 0x3e9e377a, v29
	;; [unrolled: 1-line block ×7, first 2 shown]
	v_fmac_f32_e32 v11, 0x3e9e377a, v31
	ds_store_2addr_b64 v48, v[20:21], v[22:23] offset1:110
	ds_store_2addr_b64 v5, v[12:13], v[16:17] offset0:92 offset1:202
	ds_store_2addr_b64 v4, v[14:15], v[18:19] offset0:56 offset1:166
	;; [unrolled: 1-line block ×4, first 2 shown]
	global_wb scope:SCOPE_SE
	s_wait_dscnt 0x0
	s_barrier_signal -1
	s_barrier_wait -1
	global_inv scope:SCOPE_SE
	s_and_saveexec_b32 s0, vcc_lo
	s_cbranch_execz .LBB0_25
; %bb.24:
	v_mul_lo_u32 v0, s3, v44
	v_mul_lo_u32 v2, s2, v45
	v_mad_co_u64_u32 v[6:7], null, s2, v44, 0
	v_lshl_add_u32 v20, v42, 3, 0
	v_mov_b32_e32 v43, v1
	v_lshlrev_b64_e32 v[10:11], 3, v[40:41]
	s_delay_alu instid0(VALU_DEP_3)
	v_add_nc_u32_e32 v8, 0x400, v20
	v_add3_u32 v7, v7, v2, v0
	v_add_nc_u32_e32 v0, 0x6e, v42
	v_lshlrev_b64_e32 v[14:15], 3, v[42:43]
	ds_load_2addr_b64 v[2:5], v20 offset1:110
	v_add_nc_u32_e32 v21, 0xc00, v20
	v_lshlrev_b64_e32 v[12:13], 3, v[6:7]
	v_lshlrev_b64_e32 v[16:17], 3, v[0:1]
	v_add_nc_u32_e32 v0, 0xdc, v42
	ds_load_2addr_b64 v[6:9], v8 offset0:92 offset1:202
	v_add_co_u32 v18, vcc_lo, s6, v12
	s_wait_alu 0xfffd
	v_add_co_ci_u32_e32 v19, vcc_lo, s7, v13, vcc_lo
	v_lshlrev_b64_e32 v[12:13], 3, v[0:1]
	s_delay_alu instid0(VALU_DEP_3) | instskip(SKIP_1) | instid1(VALU_DEP_3)
	v_add_co_u32 v24, vcc_lo, v18, v10
	s_wait_alu 0xfffd
	v_add_co_ci_u32_e32 v25, vcc_lo, v19, v11, vcc_lo
	v_add_nc_u32_e32 v0, 0x14a, v42
	s_delay_alu instid0(VALU_DEP_3) | instskip(SKIP_1) | instid1(VALU_DEP_3)
	v_add_co_u32 v10, vcc_lo, v24, v14
	s_wait_alu 0xfffd
	v_add_co_ci_u32_e32 v11, vcc_lo, v25, v15, vcc_lo
	v_add_co_u32 v14, vcc_lo, v24, v16
	s_wait_alu 0xfffd
	v_add_co_ci_u32_e32 v15, vcc_lo, v25, v17, vcc_lo
	v_lshlrev_b64_e32 v[16:17], 3, v[0:1]
	v_add_nc_u32_e32 v0, 0x1b8, v42
	v_add_co_u32 v12, vcc_lo, v24, v12
	s_wait_alu 0xfffd
	v_add_co_ci_u32_e32 v13, vcc_lo, v25, v13, vcc_lo
	s_delay_alu instid0(VALU_DEP_3)
	v_lshlrev_b64_e32 v[18:19], 3, v[0:1]
	v_add_nc_u32_e32 v0, 0x226, v42
	v_add_co_u32 v16, vcc_lo, v24, v16
	s_wait_alu 0xfffd
	v_add_co_ci_u32_e32 v17, vcc_lo, v25, v17, vcc_lo
	s_wait_dscnt 0x1
	s_clause 0x1
	global_store_b64 v[10:11], v[2:3], off
	global_store_b64 v[14:15], v[4:5], off
	s_wait_dscnt 0x0
	s_clause 0x1
	global_store_b64 v[12:13], v[6:7], off
	global_store_b64 v[16:17], v[8:9], off
	v_lshlrev_b64_e32 v[6:7], 3, v[0:1]
	v_add_nc_u32_e32 v0, 0x294, v42
	v_add_co_u32 v14, vcc_lo, v24, v18
	v_add_nc_u32_e32 v8, 0x1400, v20
	s_wait_alu 0xfffd
	v_add_co_ci_u32_e32 v15, vcc_lo, v25, v19, vcc_lo
	v_lshlrev_b64_e32 v[10:11], 3, v[0:1]
	v_add_nc_u32_e32 v0, 0x302, v42
	v_add_co_u32 v16, vcc_lo, v24, v6
	v_add_nc_u32_e32 v12, 0x1800, v20
	ds_load_2addr_b64 v[2:5], v21 offset0:56 offset1:166
	s_wait_alu 0xfffd
	v_add_co_ci_u32_e32 v17, vcc_lo, v25, v7, vcc_lo
	ds_load_2addr_b64 v[6:9], v8 offset0:20 offset1:130
	v_lshlrev_b64_e32 v[18:19], 3, v[0:1]
	v_add_nc_u32_e32 v0, 0x370, v42
	v_add_co_u32 v20, vcc_lo, v24, v10
	s_wait_alu 0xfffd
	v_add_co_ci_u32_e32 v21, vcc_lo, v25, v11, vcc_lo
	ds_load_2addr_b64 v[10:13], v12 offset0:112 offset1:222
	v_lshlrev_b64_e32 v[22:23], 3, v[0:1]
	v_add_nc_u32_e32 v0, 0x3de, v42
	v_add_co_u32 v18, vcc_lo, v24, v18
	s_wait_alu 0xfffd
	v_add_co_ci_u32_e32 v19, vcc_lo, v25, v19, vcc_lo
	s_delay_alu instid0(VALU_DEP_3) | instskip(SKIP_3) | instid1(VALU_DEP_3)
	v_lshlrev_b64_e32 v[0:1], 3, v[0:1]
	v_add_co_u32 v22, vcc_lo, v24, v22
	s_wait_alu 0xfffd
	v_add_co_ci_u32_e32 v23, vcc_lo, v25, v23, vcc_lo
	v_add_co_u32 v0, vcc_lo, v24, v0
	s_wait_alu 0xfffd
	v_add_co_ci_u32_e32 v1, vcc_lo, v25, v1, vcc_lo
	s_wait_dscnt 0x2
	s_clause 0x1
	global_store_b64 v[14:15], v[2:3], off
	global_store_b64 v[16:17], v[4:5], off
	s_wait_dscnt 0x1
	s_clause 0x1
	global_store_b64 v[20:21], v[6:7], off
	global_store_b64 v[18:19], v[8:9], off
	;; [unrolled: 4-line block ×3, first 2 shown]
.LBB0_25:
	s_nop 0
	s_sendmsg sendmsg(MSG_DEALLOC_VGPRS)
	s_endpgm
	.section	.rodata,"a",@progbits
	.p2align	6, 0x0
	.amdhsa_kernel fft_rtc_back_len1100_factors_2_2_11_5_5_wgs_110_tpt_110_sp_op_CI_CI_unitstride_sbrr_C2R_dirReg
		.amdhsa_group_segment_fixed_size 0
		.amdhsa_private_segment_fixed_size 0
		.amdhsa_kernarg_size 104
		.amdhsa_user_sgpr_count 2
		.amdhsa_user_sgpr_dispatch_ptr 0
		.amdhsa_user_sgpr_queue_ptr 0
		.amdhsa_user_sgpr_kernarg_segment_ptr 1
		.amdhsa_user_sgpr_dispatch_id 0
		.amdhsa_user_sgpr_private_segment_size 0
		.amdhsa_wavefront_size32 1
		.amdhsa_uses_dynamic_stack 0
		.amdhsa_enable_private_segment 0
		.amdhsa_system_sgpr_workgroup_id_x 1
		.amdhsa_system_sgpr_workgroup_id_y 0
		.amdhsa_system_sgpr_workgroup_id_z 0
		.amdhsa_system_sgpr_workgroup_info 0
		.amdhsa_system_vgpr_workitem_id 0
		.amdhsa_next_free_vgpr 127
		.amdhsa_next_free_sgpr 39
		.amdhsa_reserve_vcc 1
		.amdhsa_float_round_mode_32 0
		.amdhsa_float_round_mode_16_64 0
		.amdhsa_float_denorm_mode_32 3
		.amdhsa_float_denorm_mode_16_64 3
		.amdhsa_fp16_overflow 0
		.amdhsa_workgroup_processor_mode 1
		.amdhsa_memory_ordered 1
		.amdhsa_forward_progress 0
		.amdhsa_round_robin_scheduling 0
		.amdhsa_exception_fp_ieee_invalid_op 0
		.amdhsa_exception_fp_denorm_src 0
		.amdhsa_exception_fp_ieee_div_zero 0
		.amdhsa_exception_fp_ieee_overflow 0
		.amdhsa_exception_fp_ieee_underflow 0
		.amdhsa_exception_fp_ieee_inexact 0
		.amdhsa_exception_int_div_zero 0
	.end_amdhsa_kernel
	.text
.Lfunc_end0:
	.size	fft_rtc_back_len1100_factors_2_2_11_5_5_wgs_110_tpt_110_sp_op_CI_CI_unitstride_sbrr_C2R_dirReg, .Lfunc_end0-fft_rtc_back_len1100_factors_2_2_11_5_5_wgs_110_tpt_110_sp_op_CI_CI_unitstride_sbrr_C2R_dirReg
                                        ; -- End function
	.section	.AMDGPU.csdata,"",@progbits
; Kernel info:
; codeLenInByte = 9032
; NumSgprs: 41
; NumVgprs: 127
; ScratchSize: 0
; MemoryBound: 0
; FloatMode: 240
; IeeeMode: 1
; LDSByteSize: 0 bytes/workgroup (compile time only)
; SGPRBlocks: 5
; VGPRBlocks: 15
; NumSGPRsForWavesPerEU: 41
; NumVGPRsForWavesPerEU: 127
; Occupancy: 10
; WaveLimiterHint : 1
; COMPUTE_PGM_RSRC2:SCRATCH_EN: 0
; COMPUTE_PGM_RSRC2:USER_SGPR: 2
; COMPUTE_PGM_RSRC2:TRAP_HANDLER: 0
; COMPUTE_PGM_RSRC2:TGID_X_EN: 1
; COMPUTE_PGM_RSRC2:TGID_Y_EN: 0
; COMPUTE_PGM_RSRC2:TGID_Z_EN: 0
; COMPUTE_PGM_RSRC2:TIDIG_COMP_CNT: 0
	.text
	.p2alignl 7, 3214868480
	.fill 96, 4, 3214868480
	.type	__hip_cuid_7b28e9650fe2f70f,@object ; @__hip_cuid_7b28e9650fe2f70f
	.section	.bss,"aw",@nobits
	.globl	__hip_cuid_7b28e9650fe2f70f
__hip_cuid_7b28e9650fe2f70f:
	.byte	0                               ; 0x0
	.size	__hip_cuid_7b28e9650fe2f70f, 1

	.ident	"AMD clang version 19.0.0git (https://github.com/RadeonOpenCompute/llvm-project roc-6.4.0 25133 c7fe45cf4b819c5991fe208aaa96edf142730f1d)"
	.section	".note.GNU-stack","",@progbits
	.addrsig
	.addrsig_sym __hip_cuid_7b28e9650fe2f70f
	.amdgpu_metadata
---
amdhsa.kernels:
  - .args:
      - .actual_access:  read_only
        .address_space:  global
        .offset:         0
        .size:           8
        .value_kind:     global_buffer
      - .offset:         8
        .size:           8
        .value_kind:     by_value
      - .actual_access:  read_only
        .address_space:  global
        .offset:         16
        .size:           8
        .value_kind:     global_buffer
      - .actual_access:  read_only
        .address_space:  global
        .offset:         24
        .size:           8
        .value_kind:     global_buffer
      - .actual_access:  read_only
        .address_space:  global
        .offset:         32
        .size:           8
        .value_kind:     global_buffer
      - .offset:         40
        .size:           8
        .value_kind:     by_value
      - .actual_access:  read_only
        .address_space:  global
        .offset:         48
        .size:           8
        .value_kind:     global_buffer
      - .actual_access:  read_only
        .address_space:  global
        .offset:         56
        .size:           8
        .value_kind:     global_buffer
      - .offset:         64
        .size:           4
        .value_kind:     by_value
      - .actual_access:  read_only
        .address_space:  global
        .offset:         72
        .size:           8
        .value_kind:     global_buffer
      - .actual_access:  read_only
        .address_space:  global
        .offset:         80
        .size:           8
        .value_kind:     global_buffer
      - .actual_access:  read_only
        .address_space:  global
        .offset:         88
        .size:           8
        .value_kind:     global_buffer
      - .actual_access:  write_only
        .address_space:  global
        .offset:         96
        .size:           8
        .value_kind:     global_buffer
    .group_segment_fixed_size: 0
    .kernarg_segment_align: 8
    .kernarg_segment_size: 104
    .language:       OpenCL C
    .language_version:
      - 2
      - 0
    .max_flat_workgroup_size: 110
    .name:           fft_rtc_back_len1100_factors_2_2_11_5_5_wgs_110_tpt_110_sp_op_CI_CI_unitstride_sbrr_C2R_dirReg
    .private_segment_fixed_size: 0
    .sgpr_count:     41
    .sgpr_spill_count: 0
    .symbol:         fft_rtc_back_len1100_factors_2_2_11_5_5_wgs_110_tpt_110_sp_op_CI_CI_unitstride_sbrr_C2R_dirReg.kd
    .uniform_work_group_size: 1
    .uses_dynamic_stack: false
    .vgpr_count:     127
    .vgpr_spill_count: 0
    .wavefront_size: 32
    .workgroup_processor_mode: 1
amdhsa.target:   amdgcn-amd-amdhsa--gfx1201
amdhsa.version:
  - 1
  - 2
...

	.end_amdgpu_metadata
